;; amdgpu-corpus repo=ROCm/rocFFT kind=compiled arch=gfx950 opt=O3
	.text
	.amdgcn_target "amdgcn-amd-amdhsa--gfx950"
	.amdhsa_code_object_version 6
	.protected	fft_rtc_back_len100_factors_5_5_4_wgs_100_tpt_25_dp_op_CI_CI_sbrc_unaligned ; -- Begin function fft_rtc_back_len100_factors_5_5_4_wgs_100_tpt_25_dp_op_CI_CI_sbrc_unaligned
	.globl	fft_rtc_back_len100_factors_5_5_4_wgs_100_tpt_25_dp_op_CI_CI_sbrc_unaligned
	.p2align	8
	.type	fft_rtc_back_len100_factors_5_5_4_wgs_100_tpt_25_dp_op_CI_CI_sbrc_unaligned,@function
fft_rtc_back_len100_factors_5_5_4_wgs_100_tpt_25_dp_op_CI_CI_sbrc_unaligned: ; @fft_rtc_back_len100_factors_5_5_4_wgs_100_tpt_25_dp_op_CI_CI_sbrc_unaligned
; %bb.0:
	s_load_dwordx8 s[4:11], s[0:1], 0x0
	s_mov_b32 s28, 0
	s_mov_b64 s[34:35], 2
	s_mov_b32 s40, s28
	s_waitcnt lgkmcnt(0)
	s_load_dword s33, s[8:9], 0x8
	s_load_dwordx4 s[16:19], s[0:1], 0x58
	s_load_dwordx2 s[26:27], s[0:1], 0x20
	s_load_dwordx4 s[20:23], s[10:11], 0x0
	v_cmp_gt_u64_e64 s[0:1], s[6:7], 2
	s_waitcnt lgkmcnt(0)
	s_add_i32 s3, s33, -1
	s_lshr_b32 s3, s3, 2
	s_add_i32 s3, s3, 1
	v_cvt_f32_u32_e32 v1, s3
	s_load_dwordx4 s[12:15], s[26:27], 0x0
	s_waitcnt lgkmcnt(0)
	s_sub_i32 s15, 0, s3
	v_rcp_iflag_f32_e32 v1, v1
	s_nop 0
	v_mul_f32_e32 v1, 0x4f7ffffe, v1
	v_cvt_u32_f32_e32 v1, v1
	s_nop 0
	v_readfirstlane_b32 s23, v1
	s_mul_i32 s15, s15, s23
	s_mul_hi_u32 s15, s23, s15
	s_add_i32 s23, s23, s15
	s_mul_hi_u32 s15, s2, s23
	s_mul_i32 s23, s15, s3
	s_sub_i32 s23, s2, s23
	s_add_i32 s24, s15, 1
	s_sub_i32 s25, s23, s3
	s_cmp_ge_u32 s23, s3
	s_cselect_b32 s15, s24, s15
	s_cselect_b32 s23, s25, s23
	s_add_i32 s24, s15, 1
	s_cmp_ge_u32 s23, s3
	s_cselect_b32 s31, s24, s15
	s_and_b64 vcc, exec, s[0:1]
	s_mul_i32 s0, s31, s3
	s_sub_i32 s0, s2, s0
	s_lshl_b32 s15, s0, 2
	s_mul_i32 s0, s13, s15
	s_mul_hi_u32 s1, s12, s15
	s_mul_i32 s23, s15, s22
	s_mul_i32 s24, s12, s15
	s_add_i32 s25, s1, s0
	s_cbranch_vccz .LBB0_9
; %bb.1:
	s_mov_b32 s30, 3
	v_mov_b64_e32 v[2:3], s[6:7]
.LBB0_2:                                ; =>This Inner Loop Header: Depth=1
	s_lshl_b64 s[34:35], s[34:35], 3
	s_add_u32 s0, s8, s34
	s_addc_u32 s1, s9, s35
	s_load_dwordx2 s[36:37], s[0:1], 0x0
	s_waitcnt lgkmcnt(0)
	s_mov_b32 s29, s37
	s_cmp_lg_u64 s[28:29], 0
	s_cbranch_scc0 .LBB0_7
; %bb.3:                                ;   in Loop: Header=BB0_2 Depth=1
	v_cvt_f32_u32_e32 v1, s36
	v_cvt_f32_u32_e32 v4, s37
	s_sub_u32 s0, 0, s36
	s_subb_u32 s1, 0, s37
	v_fmac_f32_e32 v1, 0x4f800000, v4
	v_rcp_f32_e32 v1, v1
	s_nop 0
	v_mul_f32_e32 v1, 0x5f7ffffc, v1
	v_mul_f32_e32 v4, 0x2f800000, v1
	v_trunc_f32_e32 v4, v4
	v_fmac_f32_e32 v1, 0xcf800000, v4
	v_cvt_u32_f32_e32 v4, v4
	v_cvt_u32_f32_e32 v1, v1
	v_readfirstlane_b32 s29, v4
	v_readfirstlane_b32 s38, v1
	s_mul_i32 s39, s0, s29
	s_mul_hi_u32 s42, s0, s38
	s_mul_i32 s41, s1, s38
	s_add_i32 s39, s42, s39
	s_mul_i32 s43, s0, s38
	s_add_i32 s39, s39, s41
	s_mul_hi_u32 s41, s38, s39
	s_mul_i32 s42, s38, s39
	s_mul_hi_u32 s38, s38, s43
	s_add_u32 s38, s38, s42
	s_addc_u32 s41, 0, s41
	s_mul_hi_u32 s44, s29, s43
	s_mul_i32 s43, s29, s43
	s_add_u32 s38, s38, s43
	s_mul_hi_u32 s42, s29, s39
	s_addc_u32 s38, s41, s44
	s_addc_u32 s41, s42, 0
	s_mul_i32 s39, s29, s39
	s_add_u32 s38, s38, s39
	s_addc_u32 s39, 0, s41
	v_add_co_u32_e32 v1, vcc, s38, v1
	s_cmp_lg_u64 vcc, 0
	s_addc_u32 s29, s29, s39
	v_readfirstlane_b32 s39, v1
	s_mul_i32 s38, s0, s29
	s_mul_hi_u32 s41, s0, s39
	s_add_i32 s38, s41, s38
	s_mul_i32 s1, s1, s39
	s_add_i32 s38, s38, s1
	s_mul_i32 s0, s0, s39
	s_mul_hi_u32 s41, s29, s0
	s_mul_i32 s42, s29, s0
	s_mul_i32 s44, s39, s38
	s_mul_hi_u32 s0, s39, s0
	s_mul_hi_u32 s43, s39, s38
	s_add_u32 s0, s0, s44
	s_addc_u32 s39, 0, s43
	s_add_u32 s0, s0, s42
	s_mul_hi_u32 s1, s29, s38
	s_addc_u32 s0, s39, s41
	s_addc_u32 s1, s1, 0
	s_mul_i32 s38, s29, s38
	s_add_u32 s0, s0, s38
	s_addc_u32 s1, 0, s1
	v_add_co_u32_e32 v1, vcc, s0, v1
	s_cmp_lg_u64 vcc, 0
	s_addc_u32 s0, s29, s1
	v_readfirstlane_b32 s29, v1
	s_mul_hi_u32 s1, s31, s0
	s_mul_i32 s0, s31, s0
	s_mul_hi_u32 s29, s31, s29
	s_add_u32 s0, s29, s0
	s_addc_u32 s29, 0, s1
	s_mul_i32 s0, s37, s29
	s_mul_hi_u32 s1, s36, s29
	s_add_i32 s38, s1, s0
	s_mul_i32 s1, s36, s29
	v_mov_b32_e32 v1, s1
	s_sub_i32 s0, 0, s38
	v_sub_co_u32_e32 v1, vcc, s31, v1
	s_cmp_lg_u64 vcc, 0
	s_subb_u32 s39, s0, s37
	v_subrev_co_u32_e64 v4, s[0:1], s36, v1
	s_cmp_lg_u64 s[0:1], 0
	s_subb_u32 s0, s39, 0
	s_cmp_ge_u32 s0, s37
	v_readfirstlane_b32 s39, v4
	s_cselect_b32 s1, -1, 0
	s_cmp_ge_u32 s39, s36
	s_cselect_b32 s39, -1, 0
	s_cmp_eq_u32 s0, s37
	s_cselect_b32 s0, s39, s1
	s_add_u32 s1, s29, 1
	s_addc_u32 s39, 0, 0
	s_add_u32 s41, s29, 2
	s_addc_u32 s42, 0, 0
	s_cmp_lg_u32 s0, 0
	s_cselect_b32 s0, s41, s1
	s_cselect_b32 s1, s42, s39
	s_cmp_lg_u64 vcc, 0
	s_subb_u32 s38, 0, s38
	s_cmp_ge_u32 s38, s37
	v_readfirstlane_b32 s41, v1
	s_cselect_b32 s39, -1, 0
	s_cmp_ge_u32 s41, s36
	s_cselect_b32 s41, -1, 0
	s_cmp_eq_u32 s38, s37
	s_cselect_b32 s38, s41, s39
	s_cmp_lg_u32 s38, 0
	s_cselect_b32 s1, s1, 0
	s_cselect_b32 s0, s0, s29
	s_cbranch_execnz .LBB0_5
.LBB0_4:                                ;   in Loop: Header=BB0_2 Depth=1
	v_cvt_f32_u32_e32 v1, s36
	s_sub_i32 s0, 0, s36
	v_rcp_iflag_f32_e32 v1, v1
	s_nop 0
	v_mul_f32_e32 v1, 0x4f7ffffe, v1
	v_cvt_u32_f32_e32 v1, v1
	s_nop 0
	v_readfirstlane_b32 s1, v1
	s_mul_i32 s0, s0, s1
	s_mul_hi_u32 s0, s1, s0
	s_add_i32 s1, s1, s0
	s_mul_hi_u32 s0, s31, s1
	s_mul_i32 s29, s0, s36
	s_sub_i32 s29, s31, s29
	s_add_i32 s1, s0, 1
	s_sub_i32 s38, s29, s36
	s_cmp_ge_u32 s29, s36
	s_cselect_b32 s0, s1, s0
	s_cselect_b32 s29, s38, s29
	s_add_i32 s1, s0, 1
	s_cmp_ge_u32 s29, s36
	s_cselect_b32 s0, s1, s0
	s_mov_b32 s1, s28
.LBB0_5:                                ;   in Loop: Header=BB0_2 Depth=1
	s_mul_i32 s29, s0, s37
	s_mul_hi_u32 s37, s0, s36
	s_add_i32 s29, s37, s29
	s_mul_i32 s1, s1, s36
	s_add_i32 s29, s29, s1
	s_mul_i32 s1, s0, s36
	s_sub_u32 s1, s31, s1
	s_subb_u32 s29, 0, s29
	s_add_u32 s38, s10, s34
	s_addc_u32 s39, s11, s35
	s_load_dwordx2 s[38:39], s[38:39], 0x0
	s_mul_i32 s3, s3, s36
	s_waitcnt lgkmcnt(0)
	s_mul_i32 s31, s38, s29
	s_mul_hi_u32 s37, s38, s1
	s_add_i32 s31, s37, s31
	s_mul_i32 s37, s39, s1
	s_add_i32 s31, s31, s37
	s_mul_i32 s37, s38, s1
	s_add_u32 s23, s37, s23
	s_addc_u32 s40, s31, s40
	s_add_u32 s34, s26, s34
	s_addc_u32 s35, s27, s35
	s_load_dwordx2 s[34:35], s[34:35], 0x0
	s_waitcnt lgkmcnt(0)
	s_mul_i32 s29, s34, s29
	s_mul_hi_u32 s31, s34, s1
	s_add_i32 s29, s31, s29
	s_mul_i32 s31, s35, s1
	s_add_i32 s29, s29, s31
	s_mul_i32 s1, s34, s1
	s_mov_b32 s31, s28
	s_add_u32 s24, s1, s24
	v_cmp_ge_u64_e32 vcc, s[30:31], v[2:3]
	s_addc_u32 s25, s29, s25
	s_mov_b64 s[34:35], s[30:31]
	s_add_i32 s30, s30, 1
	s_cbranch_vccnz .LBB0_8
; %bb.6:                                ;   in Loop: Header=BB0_2 Depth=1
	s_mov_b32 s31, s0
	s_branch .LBB0_2
.LBB0_7:                                ;   in Loop: Header=BB0_2 Depth=1
                                        ; implicit-def: $sgpr0_sgpr1
	s_branch .LBB0_4
.LBB0_8:
	v_cvt_f32_u32_e32 v1, s3
	s_sub_i32 s0, 0, s3
	v_rcp_iflag_f32_e32 v1, v1
	s_nop 0
	v_mul_f32_e32 v1, 0x4f7ffffe, v1
	v_cvt_u32_f32_e32 v1, v1
	s_nop 0
	v_readfirstlane_b32 s1, v1
	s_mul_i32 s0, s0, s1
	s_mul_hi_u32 s0, s1, s0
	s_add_i32 s1, s1, s0
	s_mul_hi_u32 s0, s2, s1
	s_mul_i32 s1, s0, s3
	s_sub_i32 s1, s2, s1
	s_add_i32 s8, s0, 1
	s_sub_i32 s2, s1, s3
	s_cmp_ge_u32 s1, s3
	s_cselect_b32 s0, s8, s0
	s_cselect_b32 s1, s2, s1
	s_add_i32 s2, s0, 1
	s_cmp_ge_u32 s1, s3
	s_cselect_b32 s31, s2, s0
.LBB0_9:
	s_lshl_b64 s[0:1], s[6:7], 3
	s_add_u32 s2, s10, s0
	s_addc_u32 s3, s11, s1
	s_load_dwordx2 s[2:3], s[2:3], 0x0
	v_mul_u32_u24_e32 v1, 0x290, v0
	v_lshrrev_b32_e32 v1, 16, v1
	v_mul_lo_u16_e32 v2, 0x64, v1
	v_sub_u16_e32 v6, v0, v2
	s_waitcnt lgkmcnt(0)
	s_mul_i32 s3, s3, s31
	s_mul_hi_u32 s6, s2, s31
	s_mul_i32 s2, s2, s31
	s_add_i32 s3, s6, s3
	s_add_u32 s6, s2, s23
	s_addc_u32 s7, s3, s40
	s_add_u32 s0, s26, s0
	s_addc_u32 s1, s27, s1
	s_load_dwordx2 s[0:1], s[0:1], 0x0
	s_add_i32 s2, s15, 4
	s_cmp_le_u32 s2, s33
	s_cselect_b64 s[2:3], -1, 0
	s_mov_b64 s[8:9], -1
	s_and_b64 vcc, exec, s[2:3]
	s_cbranch_vccnz .LBB0_14
; %bb.10:
	v_add_u32_e32 v7, s15, v1
	v_cmp_gt_u32_e32 vcc, s33, v7
	s_and_saveexec_b64 s[8:9], vcc
	s_cbranch_execz .LBB0_13
; %bb.11:
	v_mad_u64_u32 v[2:3], s[10:11], s20, v6, 0
	v_mov_b32_e32 v4, v3
	v_mad_u64_u32 v[4:5], s[10:11], s21, v6, v[4:5]
	s_lshl_b64 s[10:11], s[6:7], 4
	s_add_u32 s10, s16, s10
	v_mov_b32_e32 v3, v4
	s_addc_u32 s11, s17, s11
	v_mul_u32_u24_e32 v4, 0x640, v1
	v_lshlrev_b32_e32 v5, 4, v6
	v_lshl_add_u64 v[2:3], v[2:3], 4, s[10:11]
	v_add3_u32 v8, v4, v5, 0
	v_mul_lo_u32 v4, v1, s22
	s_mov_b64 s[10:11], 0
	v_mov_b32_e32 v5, 0
.LBB0_12:                               ; =>This Inner Loop Header: Depth=1
	v_lshl_add_u64 v[10:11], v[4:5], 4, v[2:3]
	global_load_dwordx4 v[10:13], v[10:11], off
	v_add_u32_e32 v7, 1, v7
	v_cmp_le_u32_e32 vcc, s33, v7
	v_add_u32_e32 v4, s22, v4
	s_or_b64 s[10:11], vcc, s[10:11]
	s_waitcnt vmcnt(0)
	ds_write_b128 v8, v[10:13]
	v_add_u32_e32 v8, 0x640, v8
	s_andn2_b64 exec, exec, s[10:11]
	s_cbranch_execnz .LBB0_12
.LBB0_13:
	s_or_b64 exec, exec, s[8:9]
	s_mov_b64 s[8:9], 0
.LBB0_14:
	s_andn2_b64 vcc, exec, s[8:9]
	s_cbranch_vccnz .LBB0_16
; %bb.15:
	v_mad_u64_u32 v[2:3], s[8:9], s20, v6, 0
	v_mov_b32_e32 v4, v3
	s_lshl_b64 s[6:7], s[6:7], 4
	v_mad_u64_u32 v[4:5], s[8:9], s21, v6, v[4:5]
	s_add_u32 s6, s16, s6
	v_mov_b32_e32 v3, v4
	s_addc_u32 s7, s17, s7
	v_mul_lo_u32 v12, s22, v1
	v_mov_b32_e32 v13, 0
	v_lshl_add_u64 v[14:15], v[2:3], 4, s[6:7]
	v_lshl_add_u64 v[16:17], v[12:13], 4, v[14:15]
	v_add_u32_e32 v12, s22, v12
	v_lshl_add_u64 v[18:19], v[12:13], 4, v[14:15]
	v_add_u32_e32 v12, s22, v12
	;; [unrolled: 2-line block ×3, first 2 shown]
	global_load_dwordx4 v[2:5], v[16:17], off
	global_load_dwordx4 v[8:11], v[18:19], off
	v_lshl_add_u64 v[22:23], v[12:13], 4, v[14:15]
	global_load_dwordx4 v[12:15], v[20:21], off
	global_load_dwordx4 v[16:19], v[22:23], off
	v_mul_u32_u24_e32 v1, 0x640, v1
	v_lshlrev_b32_e32 v6, 4, v6
	v_add3_u32 v1, 0, v1, v6
	s_waitcnt vmcnt(3)
	ds_write_b128 v1, v[2:5]
	s_waitcnt vmcnt(2)
	ds_write_b128 v1, v[8:11] offset:1600
	s_waitcnt vmcnt(1)
	ds_write_b128 v1, v[12:15] offset:3200
	;; [unrolled: 2-line block ×3, first 2 shown]
.LBB0_16:
	s_movk_i32 s6, 0xa3e
	v_mul_u32_u24_sdwa v1, v0, s6 dst_sel:DWORD dst_unused:UNUSED_PAD src0_sel:WORD_0 src1_sel:DWORD
	v_mov_b32_e32 v2, 3
	s_mov_b32 s6, 0xa3d70a4
	v_and_b32_sdwa v1, v1, v2 dst_sel:DWORD dst_unused:UNUSED_PAD src0_sel:WORD_1 src1_sel:DWORD
	v_mul_hi_u32 v2, v0, s6
	v_mul_u32_u24_e32 v2, 25, v2
	v_mul_lo_u16_e32 v1, 0x64, v1
	v_sub_u32_e32 v23, v0, v2
	v_lshlrev_b32_e32 v24, 4, v1
	v_lshlrev_b32_e32 v1, 4, v23
	v_add3_u32 v22, 0, v24, v1
	v_add_u32_e32 v25, 0, v1
	s_waitcnt lgkmcnt(0)
	s_barrier
	v_add_u32_e32 v1, v25, v24
	ds_read_b128 v[6:9], v22
	ds_read_b128 v[26:29], v1 offset:320
	ds_read_b128 v[30:33], v1 offset:640
	;; [unrolled: 1-line block ×4, first 2 shown]
	s_mov_b32 s6, 0x134454ff
	s_mov_b32 s7, 0xbfee6f0e
	;; [unrolled: 1-line block ×3, first 2 shown]
	s_waitcnt lgkmcnt(1)
	v_add_f64 v[4:5], v[30:31], v[34:35]
	v_fma_f64 v[14:15], -0.5, v[4:5], v[6:7]
	s_waitcnt lgkmcnt(0)
	v_add_f64 v[4:5], v[28:29], -v[40:41]
	s_mov_b32 s17, 0x3fee6f0e
	s_mov_b32 s16, s6
	v_fma_f64 v[10:11], s[6:7], v[4:5], v[14:15]
	v_add_f64 v[12:13], v[32:33], -v[36:37]
	s_mov_b32 s9, 0xbfe2cf23
	v_add_f64 v[16:17], v[26:27], -v[30:31]
	v_add_f64 v[18:19], v[38:39], -v[34:35]
	s_mov_b32 s10, 0x372fe950
	v_fmac_f64_e32 v[14:15], s[16:17], v[4:5]
	s_mov_b32 s21, 0x3fe2cf23
	s_mov_b32 s20, s8
	v_fmac_f64_e32 v[10:11], s[8:9], v[12:13]
	v_add_f64 v[16:17], v[16:17], v[18:19]
	s_mov_b32 s11, 0x3fd3c6ef
	v_fmac_f64_e32 v[14:15], s[20:21], v[12:13]
	v_fmac_f64_e32 v[10:11], s[10:11], v[16:17]
	;; [unrolled: 1-line block ×3, first 2 shown]
	v_add_f64 v[16:17], v[26:27], v[38:39]
	v_add_f64 v[2:3], v[6:7], v[26:27]
	v_fmac_f64_e32 v[6:7], -0.5, v[16:17]
	v_fma_f64 v[18:19], s[16:17], v[12:13], v[6:7]
	v_add_f64 v[16:17], v[30:31], -v[26:27]
	v_add_f64 v[20:21], v[34:35], -v[38:39]
	v_fmac_f64_e32 v[6:7], s[6:7], v[12:13]
	v_fmac_f64_e32 v[18:19], s[8:9], v[4:5]
	v_add_f64 v[16:17], v[16:17], v[20:21]
	v_fmac_f64_e32 v[6:7], s[20:21], v[4:5]
	v_add_f64 v[12:13], v[32:33], v[36:37]
	v_add_f64 v[2:3], v[2:3], v[30:31]
	v_fmac_f64_e32 v[18:19], s[10:11], v[16:17]
	v_fmac_f64_e32 v[6:7], s[10:11], v[16:17]
	v_fma_f64 v[16:17], -0.5, v[12:13], v[8:9]
	v_add_f64 v[26:27], v[26:27], -v[38:39]
	v_add_f64 v[2:3], v[2:3], v[34:35]
	v_fma_f64 v[12:13], s[16:17], v[26:27], v[16:17]
	v_add_f64 v[30:31], v[30:31], -v[34:35]
	v_add_f64 v[20:21], v[28:29], -v[32:33]
	;; [unrolled: 1-line block ×3, first 2 shown]
	v_fmac_f64_e32 v[16:17], s[6:7], v[26:27]
	v_fmac_f64_e32 v[12:13], s[20:21], v[30:31]
	v_add_f64 v[20:21], v[20:21], v[34:35]
	v_fmac_f64_e32 v[16:17], s[8:9], v[30:31]
	v_fmac_f64_e32 v[12:13], s[10:11], v[20:21]
	v_fmac_f64_e32 v[16:17], s[10:11], v[20:21]
	v_add_f64 v[20:21], v[28:29], v[40:41]
	v_add_f64 v[4:5], v[8:9], v[28:29]
	v_fmac_f64_e32 v[8:9], -0.5, v[20:21]
	v_add_f64 v[4:5], v[4:5], v[32:33]
	v_fma_f64 v[20:21], s[6:7], v[30:31], v[8:9]
	v_add_f64 v[28:29], v[32:33], -v[28:29]
	v_add_f64 v[32:33], v[36:37], -v[40:41]
	v_fmac_f64_e32 v[8:9], s[16:17], v[30:31]
	v_add_f64 v[4:5], v[4:5], v[36:37]
	v_fmac_f64_e32 v[20:21], s[20:21], v[26:27]
	v_add_f64 v[28:29], v[28:29], v[32:33]
	v_fmac_f64_e32 v[8:9], s[8:9], v[26:27]
	v_add_f64 v[2:3], v[2:3], v[38:39]
	v_add_f64 v[4:5], v[4:5], v[40:41]
	v_fmac_f64_e32 v[20:21], s[10:11], v[28:29]
	v_fmac_f64_e32 v[8:9], s[10:11], v[28:29]
	v_cmp_gt_u32_e32 vcc, 20, v23
	s_barrier
	s_and_saveexec_b64 s[6:7], vcc
	s_cbranch_execz .LBB0_18
; %bb.17:
	v_lshlrev_b32_e32 v26, 6, v23
	v_add3_u32 v25, v25, v26, v24
	ds_write_b128 v25, v[2:5]
	ds_write_b128 v25, v[10:13] offset:16
	ds_write_b128 v25, v[18:21] offset:32
	;; [unrolled: 1-line block ×4, first 2 shown]
.LBB0_18:
	s_or_b64 exec, exec, s[6:7]
	s_waitcnt lgkmcnt(0)
	s_barrier
	s_and_saveexec_b64 s[6:7], vcc
	s_cbranch_execz .LBB0_20
; %bb.19:
	ds_read_b128 v[2:5], v22
	ds_read_b128 v[10:13], v1 offset:320
	ds_read_b128 v[18:21], v1 offset:640
	ds_read_b128 v[6:9], v1 offset:960
	ds_read_b128 v[14:17], v1 offset:1280
.LBB0_20:
	s_or_b64 exec, exec, s[6:7]
	s_waitcnt lgkmcnt(0)
	s_barrier
	s_and_saveexec_b64 s[6:7], vcc
	s_cbranch_execz .LBB0_22
; %bb.21:
	s_movk_i32 s8, 0xcd
	v_mul_lo_u16_sdwa v25, v23, s8 dst_sel:DWORD dst_unused:UNUSED_PAD src0_sel:BYTE_0 src1_sel:DWORD
	v_lshrrev_b16_e32 v25, 10, v25
	v_mul_lo_u16_e32 v26, 5, v25
	v_sub_u16_e32 v26, v23, v26
	v_and_b32_e32 v62, 0xff, v26
	v_lshlrev_b32_e32 v42, 6, v62
	global_load_dwordx4 v[26:29], v42, s[4:5] offset:16
	global_load_dwordx4 v[30:33], v42, s[4:5]
	global_load_dwordx4 v[34:37], v42, s[4:5] offset:32
	global_load_dwordx4 v[38:41], v42, s[4:5] offset:48
	s_mov_b32 s8, 0x134454ff
	s_mov_b32 s9, 0x3fee6f0e
	;; [unrolled: 1-line block ×7, first 2 shown]
	v_mul_lo_u16_e32 v25, 25, v25
	s_waitcnt vmcnt(3)
	v_mul_f64 v[42:43], v[18:19], v[28:29]
	s_waitcnt vmcnt(2)
	v_mul_f64 v[44:45], v[10:11], v[32:33]
	;; [unrolled: 2-line block ×4, first 2 shown]
	v_mul_f64 v[28:29], v[20:21], v[28:29]
	v_mul_f64 v[36:37], v[8:9], v[36:37]
	;; [unrolled: 1-line block ×4, first 2 shown]
	v_fma_f64 v[20:21], v[20:21], v[26:27], -v[42:43]
	v_fma_f64 v[12:13], v[12:13], v[30:31], -v[44:45]
	;; [unrolled: 1-line block ×4, first 2 shown]
	v_fmac_f64_e32 v[28:29], v[18:19], v[26:27]
	v_fmac_f64_e32 v[36:37], v[6:7], v[34:35]
	;; [unrolled: 1-line block ×4, first 2 shown]
	v_add_f64 v[6:7], v[20:21], -v[12:13]
	v_add_f64 v[8:9], v[42:43], -v[44:45]
	v_add_f64 v[10:11], v[12:13], v[44:45]
	v_add_f64 v[30:31], v[32:33], -v[40:41]
	v_add_f64 v[14:15], v[12:13], -v[20:21]
	v_add_f64 v[18:19], v[20:21], v[42:43]
	v_add_f64 v[34:35], v[4:5], v[12:13]
	v_add_f64 v[38:39], v[28:29], -v[32:33]
	v_add_f64 v[48:49], v[12:13], -v[44:45]
	v_add_f64 v[12:13], v[32:33], v[40:41]
	v_add_f64 v[52:53], v[32:33], -v[28:29]
	v_add_f64 v[56:57], v[28:29], v[36:37]
	v_add_f64 v[32:33], v[2:3], v[32:33]
	;; [unrolled: 1-line block ×3, first 2 shown]
	v_fma_f64 v[6:7], -0.5, v[10:11], v[4:5]
	v_fma_f64 v[10:11], -0.5, v[18:19], v[4:5]
	;; [unrolled: 1-line block ×4, first 2 shown]
	v_add_f64 v[2:3], v[32:33], v[28:29]
	v_add_f64 v[26:27], v[28:29], -v[36:37]
	v_add_f64 v[16:17], v[44:45], -v[42:43]
	v_fma_f64 v[18:19], s[22:23], v[30:31], v[10:11]
	v_fmac_f64_e32 v[10:11], s[8:9], v[30:31]
	v_add_f64 v[2:3], v[2:3], v[36:37]
	v_add_f64 v[50:51], v[20:21], -v[42:43]
	v_add_f64 v[60:61], v[14:15], v[16:17]
	v_add_f64 v[16:17], v[34:35], v[20:21]
	v_fma_f64 v[14:15], s[8:9], v[26:27], v[6:7]
	v_fmac_f64_e32 v[6:7], s[22:23], v[26:27]
	v_fmac_f64_e32 v[18:19], s[16:17], v[26:27]
	;; [unrolled: 1-line block ×3, first 2 shown]
	v_add_f64 v[26:27], v[2:3], v[40:41]
	v_mov_b32_e32 v3, 4
	v_add_f64 v[46:47], v[36:37], -v[40:41]
	v_add_f64 v[54:55], v[40:41], -v[36:37]
	v_add_f64 v[28:29], v[16:17], v[42:43]
	v_fma_f64 v[12:13], s[22:23], v[50:51], v[4:5]
	v_fmac_f64_e32 v[4:5], s[8:9], v[50:51]
	v_fma_f64 v[16:17], s[8:9], v[48:49], v[8:9]
	v_fmac_f64_e32 v[8:9], s[22:23], v[48:49]
	v_lshl_add_u32 v2, v62, 4, 0
	v_lshlrev_b32_sdwa v3, v3, v25 dst_sel:DWORD dst_unused:UNUSED_PAD src0_sel:DWORD src1_sel:BYTE_0
	v_add_f64 v[20:21], v[38:39], v[46:47]
	v_add_f64 v[34:35], v[52:53], v[54:55]
	v_fmac_f64_e32 v[14:15], s[16:17], v[30:31]
	v_fmac_f64_e32 v[6:7], s[20:21], v[30:31]
	v_add_f64 v[28:29], v[28:29], v[44:45]
	v_fmac_f64_e32 v[12:13], s[20:21], v[48:49]
	v_fmac_f64_e32 v[4:5], s[16:17], v[48:49]
	;; [unrolled: 1-line block ×4, first 2 shown]
	v_add3_u32 v2, v2, v3, v24
	v_fmac_f64_e32 v[14:15], s[10:11], v[58:59]
	v_fmac_f64_e32 v[6:7], s[10:11], v[58:59]
	;; [unrolled: 1-line block ×8, first 2 shown]
	ds_write_b128 v2, v[26:29]
	ds_write_b128 v2, v[8:11] offset:80
	ds_write_b128 v2, v[4:7] offset:160
	;; [unrolled: 1-line block ×4, first 2 shown]
.LBB0_22:
	s_or_b64 exec, exec, s[6:7]
	v_mul_u32_u24_e32 v2, 3, v23
	v_lshlrev_b32_e32 v2, 4, v2
	s_waitcnt lgkmcnt(0)
	s_barrier
	global_load_dwordx4 v[4:7], v2, s[4:5] offset:320
	global_load_dwordx4 v[8:11], v2, s[4:5] offset:336
	;; [unrolled: 1-line block ×3, first 2 shown]
	ds_read_b128 v[16:19], v22
	ds_read_b128 v[20:23], v1 offset:400
	ds_read_b128 v[24:27], v1 offset:800
	;; [unrolled: 1-line block ×3, first 2 shown]
	v_and_b32_e32 v2, 3, v0
	v_or_b32_e32 v3, s15, v2
	v_cmp_gt_u32_e32 vcc, s33, v3
	s_or_b64 s[2:3], s[2:3], vcc
	s_waitcnt lgkmcnt(0)
	s_barrier
	s_waitcnt vmcnt(2)
	v_mul_f64 v[32:33], v[22:23], v[6:7]
	v_mul_f64 v[6:7], v[20:21], v[6:7]
	s_waitcnt vmcnt(1)
	v_mul_f64 v[34:35], v[26:27], v[10:11]
	v_mul_f64 v[10:11], v[24:25], v[10:11]
	;; [unrolled: 3-line block ×3, first 2 shown]
	v_fmac_f64_e32 v[32:33], v[20:21], v[4:5]
	v_fma_f64 v[4:5], v[22:23], v[4:5], -v[6:7]
	v_fmac_f64_e32 v[34:35], v[24:25], v[8:9]
	v_fma_f64 v[6:7], v[26:27], v[8:9], -v[10:11]
	;; [unrolled: 2-line block ×3, first 2 shown]
	v_add_f64 v[12:13], v[16:17], -v[34:35]
	v_add_f64 v[14:15], v[18:19], -v[6:7]
	;; [unrolled: 1-line block ×4, first 2 shown]
	v_fma_f64 v[16:17], v[16:17], 2.0, -v[12:13]
	v_fma_f64 v[18:19], v[18:19], 2.0, -v[14:15]
	;; [unrolled: 1-line block ×4, first 2 shown]
	v_add_f64 v[4:5], v[12:13], v[8:9]
	v_add_f64 v[6:7], v[14:15], -v[6:7]
	v_add_f64 v[8:9], v[16:17], -v[10:11]
	;; [unrolled: 1-line block ×3, first 2 shown]
	v_fma_f64 v[12:13], v[12:13], 2.0, -v[4:5]
	v_fma_f64 v[14:15], v[14:15], 2.0, -v[6:7]
	ds_write_b128 v1, v[4:7] offset:1200
	v_fma_f64 v[4:5], v[16:17], 2.0, -v[8:9]
	v_fma_f64 v[6:7], v[18:19], 2.0, -v[10:11]
	ds_write_b128 v1, v[12:15] offset:400
	ds_write_b128 v1, v[8:11] offset:800
	ds_write_b128 v1, v[4:7]
	s_waitcnt lgkmcnt(0)
	s_barrier
	s_and_saveexec_b64 s[4:5], s[2:3]
	s_cbranch_execz .LBB0_24
; %bb.23:
	s_mul_i32 s1, s1, s31
	s_mul_hi_u32 s2, s0, s31
	s_add_i32 s1, s2, s1
	v_mad_u64_u32 v[4:5], s[2:3], s12, v2, 0
	s_mul_i32 s0, s0, s31
	v_lshrrev_b32_e32 v3, 2, v0
	v_mov_b32_e32 v0, v5
	v_mad_u64_u32 v[0:1], s[2:3], s13, v2, v[0:1]
	s_lshl_b64 s[0:1], s[0:1], 4
	s_add_u32 s2, s18, s0
	v_mov_b32_e32 v5, v0
	v_mul_u32_u24_e32 v0, 0x640, v2
	v_lshlrev_b32_e32 v1, 4, v3
	s_addc_u32 s3, s19, s1
	s_lshl_b64 s[0:1], s[24:25], 4
	v_add3_u32 v14, 0, v0, v1
	s_add_u32 s0, s2, s0
	v_mul_lo_u32 v8, v3, s14
	ds_read_b128 v[0:3], v14
	s_addc_u32 s1, s3, s1
	v_lshl_add_u64 v[10:11], v[4:5], 4, s[0:1]
	ds_read_b128 v[4:7], v14 offset:400
	v_mov_b32_e32 v9, 0
	s_mul_i32 s0, s14, 25
	v_lshl_add_u64 v[12:13], v[8:9], 4, v[10:11]
	v_add_u32_e32 v8, s0, v8
	s_waitcnt lgkmcnt(1)
	global_store_dwordx4 v[12:13], v[0:3], off
	v_lshl_add_u64 v[12:13], v[8:9], 4, v[10:11]
	ds_read_b128 v[0:3], v14 offset:800
	s_waitcnt lgkmcnt(1)
	global_store_dwordx4 v[12:13], v[4:7], off
	ds_read_b128 v[4:7], v14 offset:1200
	v_add_u32_e32 v8, s0, v8
	v_lshl_add_u64 v[12:13], v[8:9], 4, v[10:11]
	v_add_u32_e32 v8, s0, v8
	s_waitcnt lgkmcnt(1)
	global_store_dwordx4 v[12:13], v[0:3], off
	s_nop 1
	v_lshl_add_u64 v[0:1], v[8:9], 4, v[10:11]
	s_waitcnt lgkmcnt(0)
	global_store_dwordx4 v[0:1], v[4:7], off
.LBB0_24:
	s_endpgm
	.section	.rodata,"a",@progbits
	.p2align	6, 0x0
	.amdhsa_kernel fft_rtc_back_len100_factors_5_5_4_wgs_100_tpt_25_dp_op_CI_CI_sbrc_unaligned
		.amdhsa_group_segment_fixed_size 0
		.amdhsa_private_segment_fixed_size 0
		.amdhsa_kernarg_size 104
		.amdhsa_user_sgpr_count 2
		.amdhsa_user_sgpr_dispatch_ptr 0
		.amdhsa_user_sgpr_queue_ptr 0
		.amdhsa_user_sgpr_kernarg_segment_ptr 1
		.amdhsa_user_sgpr_dispatch_id 0
		.amdhsa_user_sgpr_kernarg_preload_length 0
		.amdhsa_user_sgpr_kernarg_preload_offset 0
		.amdhsa_user_sgpr_private_segment_size 0
		.amdhsa_uses_dynamic_stack 0
		.amdhsa_enable_private_segment 0
		.amdhsa_system_sgpr_workgroup_id_x 1
		.amdhsa_system_sgpr_workgroup_id_y 0
		.amdhsa_system_sgpr_workgroup_id_z 0
		.amdhsa_system_sgpr_workgroup_info 0
		.amdhsa_system_vgpr_workitem_id 0
		.amdhsa_next_free_vgpr 63
		.amdhsa_next_free_sgpr 45
		.amdhsa_accum_offset 64
		.amdhsa_reserve_vcc 1
		.amdhsa_float_round_mode_32 0
		.amdhsa_float_round_mode_16_64 0
		.amdhsa_float_denorm_mode_32 3
		.amdhsa_float_denorm_mode_16_64 3
		.amdhsa_dx10_clamp 1
		.amdhsa_ieee_mode 1
		.amdhsa_fp16_overflow 0
		.amdhsa_tg_split 0
		.amdhsa_exception_fp_ieee_invalid_op 0
		.amdhsa_exception_fp_denorm_src 0
		.amdhsa_exception_fp_ieee_div_zero 0
		.amdhsa_exception_fp_ieee_overflow 0
		.amdhsa_exception_fp_ieee_underflow 0
		.amdhsa_exception_fp_ieee_inexact 0
		.amdhsa_exception_int_div_zero 0
	.end_amdhsa_kernel
	.text
.Lfunc_end0:
	.size	fft_rtc_back_len100_factors_5_5_4_wgs_100_tpt_25_dp_op_CI_CI_sbrc_unaligned, .Lfunc_end0-fft_rtc_back_len100_factors_5_5_4_wgs_100_tpt_25_dp_op_CI_CI_sbrc_unaligned
                                        ; -- End function
	.section	.AMDGPU.csdata,"",@progbits
; Kernel info:
; codeLenInByte = 3576
; NumSgprs: 51
; NumVgprs: 63
; NumAgprs: 0
; TotalNumVgprs: 63
; ScratchSize: 0
; MemoryBound: 0
; FloatMode: 240
; IeeeMode: 1
; LDSByteSize: 0 bytes/workgroup (compile time only)
; SGPRBlocks: 6
; VGPRBlocks: 7
; NumSGPRsForWavesPerEU: 51
; NumVGPRsForWavesPerEU: 63
; AccumOffset: 64
; Occupancy: 8
; WaveLimiterHint : 1
; COMPUTE_PGM_RSRC2:SCRATCH_EN: 0
; COMPUTE_PGM_RSRC2:USER_SGPR: 2
; COMPUTE_PGM_RSRC2:TRAP_HANDLER: 0
; COMPUTE_PGM_RSRC2:TGID_X_EN: 1
; COMPUTE_PGM_RSRC2:TGID_Y_EN: 0
; COMPUTE_PGM_RSRC2:TGID_Z_EN: 0
; COMPUTE_PGM_RSRC2:TIDIG_COMP_CNT: 0
; COMPUTE_PGM_RSRC3_GFX90A:ACCUM_OFFSET: 15
; COMPUTE_PGM_RSRC3_GFX90A:TG_SPLIT: 0
	.text
	.p2alignl 6, 3212836864
	.fill 256, 4, 3212836864
	.type	__hip_cuid_6faeec22f2b65dba,@object ; @__hip_cuid_6faeec22f2b65dba
	.section	.bss,"aw",@nobits
	.globl	__hip_cuid_6faeec22f2b65dba
__hip_cuid_6faeec22f2b65dba:
	.byte	0                               ; 0x0
	.size	__hip_cuid_6faeec22f2b65dba, 1

	.ident	"AMD clang version 19.0.0git (https://github.com/RadeonOpenCompute/llvm-project roc-6.4.0 25133 c7fe45cf4b819c5991fe208aaa96edf142730f1d)"
	.section	".note.GNU-stack","",@progbits
	.addrsig
	.addrsig_sym __hip_cuid_6faeec22f2b65dba
	.amdgpu_metadata
---
amdhsa.kernels:
  - .agpr_count:     0
    .args:
      - .actual_access:  read_only
        .address_space:  global
        .offset:         0
        .size:           8
        .value_kind:     global_buffer
      - .offset:         8
        .size:           8
        .value_kind:     by_value
      - .actual_access:  read_only
        .address_space:  global
        .offset:         16
        .size:           8
        .value_kind:     global_buffer
      - .actual_access:  read_only
        .address_space:  global
        .offset:         24
        .size:           8
        .value_kind:     global_buffer
      - .actual_access:  read_only
        .address_space:  global
        .offset:         32
        .size:           8
        .value_kind:     global_buffer
      - .offset:         40
        .size:           8
        .value_kind:     by_value
      - .actual_access:  read_only
        .address_space:  global
        .offset:         48
        .size:           8
        .value_kind:     global_buffer
      - .actual_access:  read_only
        .address_space:  global
        .offset:         56
        .size:           8
        .value_kind:     global_buffer
      - .offset:         64
        .size:           4
        .value_kind:     by_value
      - .actual_access:  read_only
        .address_space:  global
        .offset:         72
        .size:           8
        .value_kind:     global_buffer
      - .actual_access:  read_only
        .address_space:  global
        .offset:         80
        .size:           8
        .value_kind:     global_buffer
      - .actual_access:  read_only
        .address_space:  global
        .offset:         88
        .size:           8
        .value_kind:     global_buffer
      - .actual_access:  write_only
        .address_space:  global
        .offset:         96
        .size:           8
        .value_kind:     global_buffer
    .group_segment_fixed_size: 0
    .kernarg_segment_align: 8
    .kernarg_segment_size: 104
    .language:       OpenCL C
    .language_version:
      - 2
      - 0
    .max_flat_workgroup_size: 100
    .name:           fft_rtc_back_len100_factors_5_5_4_wgs_100_tpt_25_dp_op_CI_CI_sbrc_unaligned
    .private_segment_fixed_size: 0
    .sgpr_count:     51
    .sgpr_spill_count: 0
    .symbol:         fft_rtc_back_len100_factors_5_5_4_wgs_100_tpt_25_dp_op_CI_CI_sbrc_unaligned.kd
    .uniform_work_group_size: 1
    .uses_dynamic_stack: false
    .vgpr_count:     63
    .vgpr_spill_count: 0
    .wavefront_size: 64
amdhsa.target:   amdgcn-amd-amdhsa--gfx950
amdhsa.version:
  - 1
  - 2
...

	.end_amdgpu_metadata
